;; amdgpu-corpus repo=ROCm/rocFFT kind=compiled arch=gfx906 opt=O3
	.text
	.amdgcn_target "amdgcn-amd-amdhsa--gfx906"
	.amdhsa_code_object_version 6
	.protected	fft_rtc_back_len600_factors_10_6_10_wgs_60_tpt_60_halfLds_sp_ip_CI_unitstride_sbrr_R2C_dirReg ; -- Begin function fft_rtc_back_len600_factors_10_6_10_wgs_60_tpt_60_halfLds_sp_ip_CI_unitstride_sbrr_R2C_dirReg
	.globl	fft_rtc_back_len600_factors_10_6_10_wgs_60_tpt_60_halfLds_sp_ip_CI_unitstride_sbrr_R2C_dirReg
	.p2align	8
	.type	fft_rtc_back_len600_factors_10_6_10_wgs_60_tpt_60_halfLds_sp_ip_CI_unitstride_sbrr_R2C_dirReg,@function
fft_rtc_back_len600_factors_10_6_10_wgs_60_tpt_60_halfLds_sp_ip_CI_unitstride_sbrr_R2C_dirReg: ; @fft_rtc_back_len600_factors_10_6_10_wgs_60_tpt_60_halfLds_sp_ip_CI_unitstride_sbrr_R2C_dirReg
; %bb.0:
	s_load_dwordx2 s[2:3], s[4:5], 0x50
	s_load_dwordx4 s[8:11], s[4:5], 0x0
	s_load_dwordx2 s[12:13], s[4:5], 0x18
	v_mul_u32_u24_e32 v1, 0x445, v0
	v_add_u32_sdwa v5, s6, v1 dst_sel:DWORD dst_unused:UNUSED_PAD src0_sel:DWORD src1_sel:WORD_1
	v_mov_b32_e32 v3, 0
	s_waitcnt lgkmcnt(0)
	v_cmp_lt_u64_e64 s[0:1], s[10:11], 2
	v_mov_b32_e32 v1, 0
	v_mov_b32_e32 v6, v3
	s_and_b64 vcc, exec, s[0:1]
	v_mov_b32_e32 v2, 0
	s_cbranch_vccnz .LBB0_8
; %bb.1:
	s_load_dwordx2 s[0:1], s[4:5], 0x10
	s_add_u32 s6, s12, 8
	s_addc_u32 s7, s13, 0
	v_mov_b32_e32 v1, 0
	v_mov_b32_e32 v2, 0
	s_waitcnt lgkmcnt(0)
	s_add_u32 s14, s0, 8
	s_addc_u32 s15, s1, 0
	s_mov_b64 s[16:17], 1
.LBB0_2:                                ; =>This Inner Loop Header: Depth=1
	s_load_dwordx2 s[18:19], s[14:15], 0x0
                                        ; implicit-def: $vgpr7_vgpr8
	s_waitcnt lgkmcnt(0)
	v_or_b32_e32 v4, s19, v6
	v_cmp_ne_u64_e32 vcc, 0, v[3:4]
	s_and_saveexec_b64 s[0:1], vcc
	s_xor_b64 s[20:21], exec, s[0:1]
	s_cbranch_execz .LBB0_4
; %bb.3:                                ;   in Loop: Header=BB0_2 Depth=1
	v_cvt_f32_u32_e32 v4, s18
	v_cvt_f32_u32_e32 v7, s19
	s_sub_u32 s0, 0, s18
	s_subb_u32 s1, 0, s19
	v_mac_f32_e32 v4, 0x4f800000, v7
	v_rcp_f32_e32 v4, v4
	v_mul_f32_e32 v4, 0x5f7ffffc, v4
	v_mul_f32_e32 v7, 0x2f800000, v4
	v_trunc_f32_e32 v7, v7
	v_mac_f32_e32 v4, 0xcf800000, v7
	v_cvt_u32_f32_e32 v7, v7
	v_cvt_u32_f32_e32 v4, v4
	v_mul_lo_u32 v8, s0, v7
	v_mul_hi_u32 v9, s0, v4
	v_mul_lo_u32 v11, s1, v4
	v_mul_lo_u32 v10, s0, v4
	v_add_u32_e32 v8, v9, v8
	v_add_u32_e32 v8, v8, v11
	v_mul_hi_u32 v9, v4, v10
	v_mul_lo_u32 v11, v4, v8
	v_mul_hi_u32 v13, v4, v8
	v_mul_hi_u32 v12, v7, v10
	v_mul_lo_u32 v10, v7, v10
	v_mul_hi_u32 v14, v7, v8
	v_add_co_u32_e32 v9, vcc, v9, v11
	v_addc_co_u32_e32 v11, vcc, 0, v13, vcc
	v_mul_lo_u32 v8, v7, v8
	v_add_co_u32_e32 v9, vcc, v9, v10
	v_addc_co_u32_e32 v9, vcc, v11, v12, vcc
	v_addc_co_u32_e32 v10, vcc, 0, v14, vcc
	v_add_co_u32_e32 v8, vcc, v9, v8
	v_addc_co_u32_e32 v9, vcc, 0, v10, vcc
	v_add_co_u32_e32 v4, vcc, v4, v8
	v_addc_co_u32_e32 v7, vcc, v7, v9, vcc
	v_mul_lo_u32 v8, s0, v7
	v_mul_hi_u32 v9, s0, v4
	v_mul_lo_u32 v10, s1, v4
	v_mul_lo_u32 v11, s0, v4
	v_add_u32_e32 v8, v9, v8
	v_add_u32_e32 v8, v8, v10
	v_mul_lo_u32 v12, v4, v8
	v_mul_hi_u32 v13, v4, v11
	v_mul_hi_u32 v14, v4, v8
	;; [unrolled: 1-line block ×3, first 2 shown]
	v_mul_lo_u32 v11, v7, v11
	v_mul_hi_u32 v9, v7, v8
	v_add_co_u32_e32 v12, vcc, v13, v12
	v_addc_co_u32_e32 v13, vcc, 0, v14, vcc
	v_mul_lo_u32 v8, v7, v8
	v_add_co_u32_e32 v11, vcc, v12, v11
	v_addc_co_u32_e32 v10, vcc, v13, v10, vcc
	v_addc_co_u32_e32 v9, vcc, 0, v9, vcc
	v_add_co_u32_e32 v8, vcc, v10, v8
	v_addc_co_u32_e32 v9, vcc, 0, v9, vcc
	v_add_co_u32_e32 v4, vcc, v4, v8
	v_addc_co_u32_e32 v9, vcc, v7, v9, vcc
	v_mad_u64_u32 v[7:8], s[0:1], v5, v9, 0
	v_mul_hi_u32 v10, v5, v4
	v_add_co_u32_e32 v11, vcc, v10, v7
	v_addc_co_u32_e32 v12, vcc, 0, v8, vcc
	v_mad_u64_u32 v[7:8], s[0:1], v6, v4, 0
	v_mad_u64_u32 v[9:10], s[0:1], v6, v9, 0
	v_add_co_u32_e32 v4, vcc, v11, v7
	v_addc_co_u32_e32 v4, vcc, v12, v8, vcc
	v_addc_co_u32_e32 v7, vcc, 0, v10, vcc
	v_add_co_u32_e32 v4, vcc, v4, v9
	v_addc_co_u32_e32 v9, vcc, 0, v7, vcc
	v_mul_lo_u32 v10, s19, v4
	v_mul_lo_u32 v11, s18, v9
	v_mad_u64_u32 v[7:8], s[0:1], s18, v4, 0
	v_add3_u32 v8, v8, v11, v10
	v_sub_u32_e32 v10, v6, v8
	v_mov_b32_e32 v11, s19
	v_sub_co_u32_e32 v7, vcc, v5, v7
	v_subb_co_u32_e64 v10, s[0:1], v10, v11, vcc
	v_subrev_co_u32_e64 v11, s[0:1], s18, v7
	v_subbrev_co_u32_e64 v10, s[0:1], 0, v10, s[0:1]
	v_cmp_le_u32_e64 s[0:1], s19, v10
	v_cndmask_b32_e64 v12, 0, -1, s[0:1]
	v_cmp_le_u32_e64 s[0:1], s18, v11
	v_cndmask_b32_e64 v11, 0, -1, s[0:1]
	v_cmp_eq_u32_e64 s[0:1], s19, v10
	v_cndmask_b32_e64 v10, v12, v11, s[0:1]
	v_add_co_u32_e64 v11, s[0:1], 2, v4
	v_addc_co_u32_e64 v12, s[0:1], 0, v9, s[0:1]
	v_add_co_u32_e64 v13, s[0:1], 1, v4
	v_addc_co_u32_e64 v14, s[0:1], 0, v9, s[0:1]
	v_subb_co_u32_e32 v8, vcc, v6, v8, vcc
	v_cmp_ne_u32_e64 s[0:1], 0, v10
	v_cmp_le_u32_e32 vcc, s19, v8
	v_cndmask_b32_e64 v10, v14, v12, s[0:1]
	v_cndmask_b32_e64 v12, 0, -1, vcc
	v_cmp_le_u32_e32 vcc, s18, v7
	v_cndmask_b32_e64 v7, 0, -1, vcc
	v_cmp_eq_u32_e32 vcc, s19, v8
	v_cndmask_b32_e32 v7, v12, v7, vcc
	v_cmp_ne_u32_e32 vcc, 0, v7
	v_cndmask_b32_e64 v7, v13, v11, s[0:1]
	v_cndmask_b32_e32 v8, v9, v10, vcc
	v_cndmask_b32_e32 v7, v4, v7, vcc
.LBB0_4:                                ;   in Loop: Header=BB0_2 Depth=1
	s_andn2_saveexec_b64 s[0:1], s[20:21]
	s_cbranch_execz .LBB0_6
; %bb.5:                                ;   in Loop: Header=BB0_2 Depth=1
	v_cvt_f32_u32_e32 v4, s18
	s_sub_i32 s20, 0, s18
	v_rcp_iflag_f32_e32 v4, v4
	v_mul_f32_e32 v4, 0x4f7ffffe, v4
	v_cvt_u32_f32_e32 v4, v4
	v_mul_lo_u32 v7, s20, v4
	v_mul_hi_u32 v7, v4, v7
	v_add_u32_e32 v4, v4, v7
	v_mul_hi_u32 v4, v5, v4
	v_mul_lo_u32 v7, v4, s18
	v_add_u32_e32 v8, 1, v4
	v_sub_u32_e32 v7, v5, v7
	v_subrev_u32_e32 v9, s18, v7
	v_cmp_le_u32_e32 vcc, s18, v7
	v_cndmask_b32_e32 v7, v7, v9, vcc
	v_cndmask_b32_e32 v4, v4, v8, vcc
	v_add_u32_e32 v8, 1, v4
	v_cmp_le_u32_e32 vcc, s18, v7
	v_cndmask_b32_e32 v7, v4, v8, vcc
	v_mov_b32_e32 v8, v3
.LBB0_6:                                ;   in Loop: Header=BB0_2 Depth=1
	s_or_b64 exec, exec, s[0:1]
	v_mul_lo_u32 v4, v8, s18
	v_mul_lo_u32 v11, v7, s19
	v_mad_u64_u32 v[9:10], s[0:1], v7, s18, 0
	s_load_dwordx2 s[0:1], s[6:7], 0x0
	s_add_u32 s16, s16, 1
	v_add3_u32 v4, v10, v11, v4
	v_sub_co_u32_e32 v5, vcc, v5, v9
	v_subb_co_u32_e32 v4, vcc, v6, v4, vcc
	s_waitcnt lgkmcnt(0)
	v_mul_lo_u32 v4, s0, v4
	v_mul_lo_u32 v6, s1, v5
	v_mad_u64_u32 v[1:2], s[0:1], s0, v5, v[1:2]
	s_addc_u32 s17, s17, 0
	s_add_u32 s6, s6, 8
	v_add3_u32 v2, v6, v2, v4
	v_mov_b32_e32 v4, s10
	v_mov_b32_e32 v5, s11
	s_addc_u32 s7, s7, 0
	v_cmp_ge_u64_e32 vcc, s[16:17], v[4:5]
	s_add_u32 s14, s14, 8
	s_addc_u32 s15, s15, 0
	s_cbranch_vccnz .LBB0_9
; %bb.7:                                ;   in Loop: Header=BB0_2 Depth=1
	v_mov_b32_e32 v5, v7
	v_mov_b32_e32 v6, v8
	s_branch .LBB0_2
.LBB0_8:
	v_mov_b32_e32 v8, v6
	v_mov_b32_e32 v7, v5
.LBB0_9:
	s_lshl_b64 s[0:1], s[10:11], 3
	s_add_u32 s0, s12, s0
	s_addc_u32 s1, s13, s1
	s_load_dwordx2 s[6:7], s[0:1], 0x0
	s_load_dwordx2 s[10:11], s[4:5], 0x20
	s_waitcnt lgkmcnt(0)
	v_mad_u64_u32 v[1:2], s[0:1], s6, v7, v[1:2]
	s_mov_b32 s0, 0x4444445
	v_mul_lo_u32 v3, s6, v8
	v_mul_lo_u32 v4, s7, v7
	v_mul_hi_u32 v5, v0, s0
	v_cmp_gt_u64_e64 s[0:1], s[10:11], v[7:8]
	v_cmp_le_u64_e32 vcc, s[10:11], v[7:8]
	v_add3_u32 v2, v4, v2, v3
	v_mul_u32_u24_e32 v3, 60, v5
	v_sub_u32_e32 v16, v0, v3
	v_add_u32_e32 v20, 60, v16
	s_and_saveexec_b64 s[4:5], vcc
	s_xor_b64 s[4:5], exec, s[4:5]
; %bb.10:
	v_add_u32_e32 v20, 60, v16
; %bb.11:
	s_or_saveexec_b64 s[4:5], s[4:5]
	v_lshlrev_b64 v[18:19], 3, v[1:2]
	v_lshl_add_u32 v29, v16, 3, 0
	s_xor_b64 exec, exec, s[4:5]
	s_cbranch_execz .LBB0_13
; %bb.12:
	v_mov_b32_e32 v17, 0
	v_mov_b32_e32 v0, s3
	v_add_co_u32_e32 v2, vcc, s2, v18
	v_addc_co_u32_e32 v3, vcc, v0, v19, vcc
	v_lshlrev_b64 v[0:1], 3, v[16:17]
	v_add_co_u32_e32 v0, vcc, v2, v0
	v_addc_co_u32_e32 v1, vcc, v3, v1, vcc
	global_load_dwordx2 v[2:3], v[0:1], off
	global_load_dwordx2 v[4:5], v[0:1], off offset:480
	global_load_dwordx2 v[6:7], v[0:1], off offset:960
	;; [unrolled: 1-line block ×7, first 2 shown]
	v_add_co_u32_e32 v23, vcc, 0x1000, v0
	v_addc_co_u32_e32 v24, vcc, 0, v1, vcc
	global_load_dwordx2 v[25:26], v[0:1], off offset:3840
	global_load_dwordx2 v[27:28], v[23:24], off offset:224
	v_add_u32_e32 v0, 0x400, v29
	v_add_u32_e32 v1, 0x800, v29
	s_waitcnt vmcnt(8)
	ds_write2_b64 v29, v[2:3], v[4:5] offset1:60
	s_waitcnt vmcnt(6)
	ds_write2_b64 v29, v[6:7], v[8:9] offset0:120 offset1:180
	s_waitcnt vmcnt(4)
	ds_write2_b64 v0, v[10:11], v[12:13] offset0:112 offset1:172
	;; [unrolled: 2-line block ×3, first 2 shown]
	v_add_u32_e32 v0, 0xc00, v29
	s_waitcnt vmcnt(0)
	ds_write2_b64 v0, v[25:26], v[27:28] offset0:96 offset1:156
.LBB0_13:
	s_or_b64 exec, exec, s[4:5]
	s_waitcnt lgkmcnt(0)
	; wave barrier
	s_waitcnt lgkmcnt(0)
	ds_read2_b64 v[3:6], v29 offset1:60
	ds_read2_b64 v[7:10], v29 offset0:120 offset1:180
	v_add_u32_e32 v0, 0x400, v29
	ds_read2_b64 v[11:14], v0 offset0:112 offset1:172
	s_movk_i32 s4, 0x48
	v_mad_u32_u24 v52, v16, s4, v29
	s_waitcnt lgkmcnt(1)
	v_add_f32_e32 v1, v3, v7
	v_add_f32_e32 v2, v5, v9
	s_waitcnt lgkmcnt(0)
	v_add_f32_e32 v15, v1, v11
	v_add_f32_e32 v1, v4, v8
	v_add_f32_e32 v30, v2, v13
	v_add_f32_e32 v2, v6, v10
	v_add_f32_e32 v17, v1, v12
	v_add_u32_e32 v1, 0x800, v29
	v_add_f32_e32 v31, v2, v14
	v_add_u32_e32 v2, 0xc00, v29
	ds_read2_b64 v[21:24], v1 offset0:104 offset1:164
	ds_read2_b64 v[25:28], v2 offset0:96 offset1:156
	v_sub_f32_e32 v34, v7, v11
	v_sub_f32_e32 v35, v11, v7
	;; [unrolled: 1-line block ×3, first 2 shown]
	s_waitcnt lgkmcnt(1)
	v_add_f32_e32 v32, v11, v21
	v_sub_f32_e32 v33, v12, v22
	v_add_f32_e32 v36, v12, v22
	v_sub_f32_e32 v11, v11, v21
	v_sub_f32_e32 v12, v12, v8
	v_add_f32_e32 v38, v13, v23
	v_add_f32_e32 v42, v14, v24
	s_waitcnt lgkmcnt(0)
	v_sub_f32_e32 v44, v8, v26
	v_add_f32_e32 v45, v7, v25
	v_sub_f32_e32 v46, v7, v25
	v_add_f32_e32 v47, v8, v26
	v_add_f32_e32 v7, v15, v21
	;; [unrolled: 1-line block ×3, first 2 shown]
	v_sub_f32_e32 v15, v25, v21
	v_sub_f32_e32 v17, v21, v25
	;; [unrolled: 1-line block ×3, first 2 shown]
	v_add_f32_e32 v15, v34, v15
	v_add_f32_e32 v21, v37, v21
	v_fma_f32 v34, -0.5, v38, v5
	v_fma_f32 v37, -0.5, v42, v6
	v_sub_f32_e32 v48, v10, v28
	v_sub_f32_e32 v50, v9, v27
	;; [unrolled: 1-line block ×3, first 2 shown]
	v_add_f32_e32 v25, v7, v25
	v_add_f32_e32 v26, v8, v26
	v_mov_b32_e32 v7, v34
	v_mov_b32_e32 v8, v37
	v_sub_f32_e32 v39, v14, v24
	v_sub_f32_e32 v40, v9, v13
	;; [unrolled: 1-line block ×6, first 2 shown]
	v_add_f32_e32 v49, v9, v27
	v_add_f32_e32 v51, v10, v28
	;; [unrolled: 1-line block ×4, first 2 shown]
	v_sub_f32_e32 v30, v27, v23
	v_sub_f32_e32 v31, v28, v24
	v_fmac_f32_e32 v7, 0xbf737871, v48
	v_fmac_f32_e32 v8, 0x3f737871, v50
	v_fma_f32 v32, -0.5, v32, v3
	v_fma_f32 v36, -0.5, v36, v4
	v_add_f32_e32 v30, v40, v30
	v_add_f32_e32 v31, v43, v31
	v_fmac_f32_e32 v7, 0xbf167918, v39
	v_fmac_f32_e32 v8, 0x3f167918, v13
	v_mov_b32_e32 v42, v32
	v_mov_b32_e32 v43, v36
	v_fmac_f32_e32 v7, 0x3e9e377a, v30
	v_fmac_f32_e32 v8, 0x3e9e377a, v31
	;; [unrolled: 1-line block ×4, first 2 shown]
	v_mul_f32_e32 v38, 0xbf167918, v8
	v_mul_f32_e32 v40, 0x3f167918, v7
	v_fmac_f32_e32 v42, 0xbf167918, v33
	v_fmac_f32_e32 v43, 0x3f167918, v11
	v_sub_f32_e32 v23, v23, v27
	v_sub_f32_e32 v24, v24, v28
	v_add_f32_e32 v27, v9, v27
	v_add_f32_e32 v28, v10, v28
	v_fmac_f32_e32 v38, 0x3f4f1bbd, v7
	v_fmac_f32_e32 v40, 0x3f4f1bbd, v8
	;; [unrolled: 1-line block ×4, first 2 shown]
	v_add_f32_e32 v7, v25, v27
	v_add_f32_e32 v8, v26, v28
	;; [unrolled: 1-line block ×4, first 2 shown]
	s_waitcnt lgkmcnt(0)
	; wave barrier
	ds_write2_b64 v52, v[7:8], v[9:10] offset1:1
	v_fma_f32 v8, -0.5, v45, v3
	v_fmac_f32_e32 v6, -0.5, v51
	v_fma_f32 v3, -0.5, v49, v5
	v_add_f32_e32 v5, v35, v17
	v_mov_b32_e32 v17, v8
	v_fma_f32 v9, -0.5, v47, v4
	v_mov_b32_e32 v4, v6
	v_fmac_f32_e32 v6, 0x3f737871, v13
	v_fmac_f32_e32 v17, 0x3f737871, v33
	;; [unrolled: 1-line block ×3, first 2 shown]
	v_add_f32_e32 v7, v14, v24
	v_fmac_f32_e32 v6, 0xbf167918, v50
	v_fmac_f32_e32 v17, 0xbf167918, v44
	;; [unrolled: 1-line block ×6, first 2 shown]
	v_add_f32_e32 v5, v12, v22
	v_mov_b32_e32 v12, v9
	v_mul_f32_e32 v10, 0xbf737871, v6
	v_mul_f32_e32 v14, 0xbe9e377a, v6
	v_fmac_f32_e32 v12, 0xbf737871, v11
	v_fmac_f32_e32 v9, 0x3f737871, v11
	v_mov_b32_e32 v6, v3
	v_fmac_f32_e32 v4, 0xbf737871, v13
	v_fmac_f32_e32 v12, 0x3f167918, v46
	;; [unrolled: 1-line block ×9, first 2 shown]
	v_add_f32_e32 v5, v41, v23
	v_fmac_f32_e32 v6, 0xbf167918, v48
	v_fmac_f32_e32 v3, 0x3f167918, v48
	;; [unrolled: 1-line block ×7, first 2 shown]
	v_mul_f32_e32 v7, 0xbf737871, v4
	v_mul_f32_e32 v23, 0x3e9e377a, v4
	v_fmac_f32_e32 v32, 0x3f737871, v44
	v_fmac_f32_e32 v36, 0xbf737871, v46
	;; [unrolled: 1-line block ×11, first 2 shown]
	v_mul_f32_e32 v11, 0xbf167918, v37
	v_mul_f32_e32 v13, 0xbf4f1bbd, v37
	v_add_f32_e32 v3, v17, v7
	v_add_f32_e32 v4, v12, v23
	;; [unrolled: 1-line block ×4, first 2 shown]
	v_fmac_f32_e32 v32, 0x3e9e377a, v15
	v_fmac_f32_e32 v36, 0x3e9e377a, v21
	;; [unrolled: 1-line block ×4, first 2 shown]
	ds_write2_b64 v52, v[3:4], v[5:6] offset0:2 offset1:3
	v_sub_f32_e32 v3, v25, v27
	v_sub_f32_e32 v4, v26, v28
	v_add_f32_e32 v5, v32, v11
	v_add_f32_e32 v6, v36, v13
	v_sub_f32_e32 v21, v42, v38
	v_sub_f32_e32 v22, v43, v40
	v_sub_f32_e32 v25, v17, v7
	v_sub_f32_e32 v26, v12, v23
	ds_write2_b64 v52, v[5:6], v[3:4] offset0:4 offset1:5
	v_sub_f32_e32 v27, v8, v10
	v_sub_f32_e32 v28, v9, v14
	;; [unrolled: 1-line block ×4, first 2 shown]
	ds_write2_b64 v52, v[21:22], v[25:26] offset0:6 offset1:7
	ds_write2_b64 v52, v[27:28], v[23:24] offset0:8 offset1:9
	s_waitcnt lgkmcnt(0)
	; wave barrier
	s_waitcnt lgkmcnt(0)
	ds_read2_b64 v[4:7], v29 offset1:100
	ds_read2_b64 v[12:15], v0 offset0:72 offset1:172
	ds_read2_b64 v[8:11], v1 offset0:144 offset1:244
	v_cmp_gt_u32_e32 vcc, 40, v16
	v_lshl_add_u32 v30, v20, 3, 0
                                        ; implicit-def: $vgpr3
	s_and_saveexec_b64 s[4:5], vcc
	s_cbranch_execz .LBB0_15
; %bb.14:
	ds_read2_b64 v[25:28], v0 offset0:32 offset1:132
	ds_read_b64 v[21:22], v30
	ds_read2_b32 v[23:24], v1 offset0:208 offset1:209
	ds_read2_b64 v[0:3], v2 offset0:76 offset1:176
.LBB0_15:
	s_or_b64 exec, exec, s[4:5]
	s_movk_i32 s6, 0xcd
	v_mul_lo_u16_sdwa v17, v16, s6 dst_sel:DWORD dst_unused:UNUSED_PAD src0_sel:BYTE_0 src1_sel:DWORD
	v_lshrrev_b16_e32 v42, 11, v17
	v_mul_lo_u16_e32 v17, 10, v42
	v_sub_u16_e32 v43, v16, v17
	v_mov_b32_e32 v17, 5
	v_mul_u32_u24_sdwa v31, v43, v17 dst_sel:DWORD dst_unused:UNUSED_PAD src0_sel:BYTE_0 src1_sel:DWORD
	v_lshlrev_b32_e32 v31, 3, v31
	global_load_dwordx4 v[32:35], v31, s[8:9]
	global_load_dwordx4 v[36:39], v31, s[8:9] offset:16
	global_load_dwordx2 v[40:41], v31, s[8:9] offset:32
	v_mov_b32_e32 v31, 3
	v_mul_u32_u24_e32 v42, 0x1e0, v42
	v_lshlrev_b32_sdwa v43, v31, v43 dst_sel:DWORD dst_unused:UNUSED_PAD src0_sel:DWORD src1_sel:BYTE_0
	v_add3_u32 v42, 0, v42, v43
	s_waitcnt lgkmcnt(0)
	; wave barrier
	s_waitcnt vmcnt(2) lgkmcnt(0)
	v_mul_f32_e32 v43, v33, v7
	v_mul_f32_e32 v33, v33, v6
	;; [unrolled: 1-line block ×3, first 2 shown]
	s_waitcnt vmcnt(1)
	v_mul_f32_e32 v45, v37, v15
	v_mul_f32_e32 v37, v37, v14
	;; [unrolled: 1-line block ×4, first 2 shown]
	s_waitcnt vmcnt(0)
	v_mul_f32_e32 v47, v41, v11
	v_mul_f32_e32 v41, v41, v10
	;; [unrolled: 1-line block ×3, first 2 shown]
	v_fmac_f32_e32 v43, v32, v6
	v_fma_f32 v32, v32, v7, -v33
	v_fmac_f32_e32 v44, v34, v12
	v_fma_f32 v7, v36, v15, -v37
	;; [unrolled: 2-line block ×3, first 2 shown]
	v_fma_f32 v9, v40, v11, -v41
	v_fma_f32 v6, v34, v13, -v35
	v_fmac_f32_e32 v45, v36, v14
	v_fmac_f32_e32 v47, v40, v10
	v_add_f32_e32 v11, v44, v46
	v_sub_f32_e32 v34, v7, v9
	v_add_f32_e32 v35, v32, v7
	v_add_f32_e32 v7, v7, v9
	;; [unrolled: 1-line block ×3, first 2 shown]
	v_sub_f32_e32 v12, v6, v8
	v_add_f32_e32 v13, v5, v6
	v_add_f32_e32 v6, v6, v8
	v_add_f32_e32 v15, v43, v45
	v_add_f32_e32 v33, v45, v47
	v_sub_f32_e32 v36, v45, v47
	v_fma_f32 v11, -0.5, v11, v4
	v_fmac_f32_e32 v32, -0.5, v7
	v_add_f32_e32 v10, v10, v46
	v_add_f32_e32 v8, v13, v8
	v_fma_f32 v13, -0.5, v6, v5
	v_add_f32_e32 v6, v15, v47
	v_fmac_f32_e32 v43, -0.5, v33
	v_mov_b32_e32 v15, v11
	v_mov_b32_e32 v37, v32
	v_fmac_f32_e32 v32, 0xbf5db3d7, v36
	v_sub_f32_e32 v14, v44, v46
	v_add_f32_e32 v9, v35, v9
	v_fmac_f32_e32 v11, 0x3f5db3d7, v12
	v_mov_b32_e32 v33, v13
	v_mov_b32_e32 v35, v43
	v_fmac_f32_e32 v43, 0x3f5db3d7, v34
	v_add_f32_e32 v4, v10, v6
	v_sub_f32_e32 v6, v10, v6
	v_fmac_f32_e32 v15, 0xbf5db3d7, v12
	v_fmac_f32_e32 v37, 0x3f5db3d7, v36
	v_mul_f32_e32 v10, 0xbf5db3d7, v32
	v_mul_f32_e32 v12, -0.5, v32
	v_fmac_f32_e32 v13, 0xbf5db3d7, v14
	v_fmac_f32_e32 v33, 0x3f5db3d7, v14
	;; [unrolled: 1-line block ×3, first 2 shown]
	v_mul_f32_e32 v14, 0xbf5db3d7, v37
	v_fmac_f32_e32 v10, -0.5, v43
	v_mul_f32_e32 v32, 0.5, v37
	v_fmac_f32_e32 v12, 0x3f5db3d7, v43
	v_add_f32_e32 v5, v8, v9
	v_sub_f32_e32 v7, v8, v9
	v_fmac_f32_e32 v14, 0.5, v35
	v_add_f32_e32 v8, v11, v10
	v_fmac_f32_e32 v32, 0x3f5db3d7, v35
	v_add_f32_e32 v9, v13, v12
	v_sub_f32_e32 v10, v11, v10
	v_sub_f32_e32 v11, v13, v12
	v_add_f32_e32 v12, v15, v14
	v_add_f32_e32 v13, v33, v32
	v_sub_f32_e32 v14, v15, v14
	v_sub_f32_e32 v15, v33, v32
	ds_write2_b64 v42, v[8:9], v[6:7] offset0:20 offset1:30
	ds_write2_b64 v42, v[4:5], v[12:13] offset1:10
	ds_write2_b64 v42, v[14:15], v[10:11] offset0:40 offset1:50
	s_and_saveexec_b64 s[4:5], vcc
	s_cbranch_execz .LBB0_17
; %bb.16:
	v_mul_lo_u16_sdwa v4, v20, s6 dst_sel:DWORD dst_unused:UNUSED_PAD src0_sel:BYTE_0 src1_sel:DWORD
	v_lshrrev_b16_e32 v14, 11, v4
	v_mul_lo_u16_e32 v4, 10, v14
	v_sub_u16_e32 v15, v20, v4
	v_mul_u32_u24_sdwa v4, v15, v17 dst_sel:DWORD dst_unused:UNUSED_PAD src0_sel:BYTE_0 src1_sel:DWORD
	v_lshlrev_b32_e32 v17, 3, v4
	global_load_dwordx4 v[4:7], v17, s[8:9]
	global_load_dwordx4 v[8:11], v17, s[8:9] offset:16
	global_load_dwordx2 v[12:13], v17, s[8:9] offset:32
	v_mul_u32_u24_e32 v14, 0x1e0, v14
	v_lshlrev_b32_sdwa v15, v31, v15 dst_sel:DWORD dst_unused:UNUSED_PAD src0_sel:DWORD src1_sel:BYTE_0
	v_add3_u32 v14, 0, v14, v15
	s_waitcnt vmcnt(2)
	v_mul_f32_e32 v15, v27, v7
	s_waitcnt vmcnt(1)
	v_mul_f32_e32 v17, v0, v11
	v_mul_f32_e32 v11, v1, v11
	;; [unrolled: 1-line block ×3, first 2 shown]
	s_waitcnt vmcnt(0)
	v_mul_f32_e32 v33, v3, v13
	v_mul_f32_e32 v9, v23, v9
	;; [unrolled: 1-line block ×6, first 2 shown]
	v_fma_f32 v15, v28, v6, -v15
	v_fma_f32 v1, v1, v10, -v17
	v_fmac_f32_e32 v11, v0, v10
	v_fmac_f32_e32 v32, v23, v8
	;; [unrolled: 1-line block ×3, first 2 shown]
	v_fma_f32 v0, v24, v8, -v9
	v_fma_f32 v2, v3, v12, -v13
	v_fmac_f32_e32 v7, v27, v6
	v_fmac_f32_e32 v31, v25, v4
	v_fma_f32 v3, v26, v4, -v5
	v_add_f32_e32 v4, v15, v1
	v_add_f32_e32 v6, v32, v33
	;; [unrolled: 1-line block ×3, first 2 shown]
	v_sub_f32_e32 v5, v7, v11
	v_sub_f32_e32 v8, v0, v2
	;; [unrolled: 1-line block ×3, first 2 shown]
	v_add_f32_e32 v12, v22, v15
	v_add_f32_e32 v0, v3, v0
	;; [unrolled: 1-line block ×5, first 2 shown]
	v_fma_f32 v22, -0.5, v4, v22
	v_fma_f32 v4, -0.5, v6, v31
	;; [unrolled: 1-line block ×3, first 2 shown]
	v_add_f32_e32 v3, v12, v1
	v_add_f32_e32 v2, v0, v2
	v_fma_f32 v9, -0.5, v13, v21
	v_add_f32_e32 v7, v7, v11
	v_add_f32_e32 v11, v17, v33
	v_mov_b32_e32 v17, v6
	v_fmac_f32_e32 v6, 0x3f5db3d7, v10
	v_sub_f32_e32 v15, v15, v1
	v_mov_b32_e32 v13, v4
	v_fmac_f32_e32 v4, 0xbf5db3d7, v8
	v_sub_f32_e32 v1, v3, v2
	v_mov_b32_e32 v21, v9
	v_sub_f32_e32 v0, v7, v11
	v_add_f32_e32 v3, v3, v2
	v_add_f32_e32 v2, v7, v11
	v_fmac_f32_e32 v17, 0xbf5db3d7, v10
	v_mul_f32_e32 v7, 0.5, v6
	v_mul_f32_e32 v6, 0xbf5db3d7, v6
	v_mov_b32_e32 v12, v22
	v_fmac_f32_e32 v22, 0x3f5db3d7, v5
	v_fmac_f32_e32 v9, 0xbf5db3d7, v15
	;; [unrolled: 1-line block ×4, first 2 shown]
	v_mul_f32_e32 v10, -0.5, v17
	v_fmac_f32_e32 v7, 0x3f5db3d7, v4
	v_mul_f32_e32 v15, 0xbf5db3d7, v17
	v_fmac_f32_e32 v6, 0.5, v4
	v_fmac_f32_e32 v12, 0xbf5db3d7, v5
	v_fmac_f32_e32 v10, 0x3f5db3d7, v13
	v_sub_f32_e32 v5, v22, v7
	v_fmac_f32_e32 v15, -0.5, v13
	v_sub_f32_e32 v4, v9, v6
	v_add_f32_e32 v7, v22, v7
	v_add_f32_e32 v6, v9, v6
	v_sub_f32_e32 v9, v12, v10
	v_sub_f32_e32 v8, v21, v15
	v_add_f32_e32 v11, v12, v10
	v_add_f32_e32 v10, v21, v15
	ds_write2_b64 v14, v[2:3], v[6:7] offset1:10
	ds_write2_b64 v14, v[10:11], v[0:1] offset0:20 offset1:30
	ds_write2_b64 v14, v[4:5], v[8:9] offset0:40 offset1:50
.LBB0_17:
	s_or_b64 exec, exec, s[4:5]
	v_mul_u32_u24_e32 v0, 9, v16
	v_lshlrev_b32_e32 v17, 3, v0
	s_waitcnt lgkmcnt(0)
	; wave barrier
	s_waitcnt lgkmcnt(0)
	global_load_dwordx4 v[0:3], v17, s[8:9] offset:400
	global_load_dwordx4 v[4:7], v17, s[8:9] offset:416
	;; [unrolled: 1-line block ×4, first 2 shown]
	global_load_dwordx2 v[39:40], v17, s[8:9] offset:464
	ds_read2_b64 v[21:24], v29 offset1:120
	ds_read2_b64 v[25:28], v29 offset0:180 offset1:240
	ds_read_b64 v[41:42], v30
	v_add_u32_e32 v17, 0x800, v29
	ds_read_b64 v[43:44], v29 offset:4320
	ds_read2_b64 v[31:34], v17 offset0:44 offset1:104
	ds_read2_b64 v[35:38], v17 offset0:164 offset1:224
	s_waitcnt lgkmcnt(0)
	; wave barrier
	s_waitcnt lgkmcnt(0)
	s_add_u32 s6, s8, 0x1270
	s_addc_u32 s7, s9, 0
	v_cmp_ne_u32_e32 vcc, 0, v16
	s_waitcnt vmcnt(4)
	v_mul_f32_e32 v45, v1, v42
	s_waitcnt vmcnt(3)
	v_mul_f32_e32 v48, v7, v28
	s_waitcnt vmcnt(2)
	v_mul_f32_e32 v50, v34, v11
	v_mul_f32_e32 v1, v1, v41
	v_mul_f32_e32 v46, v3, v24
	;; [unrolled: 1-line block ×7, first 2 shown]
	s_waitcnt vmcnt(1)
	v_mul_f32_e32 v52, v38, v15
	v_fmac_f32_e32 v48, v6, v27
	v_fmac_f32_e32 v50, v33, v10
	v_mul_f32_e32 v7, v7, v27
	v_mul_f32_e32 v11, v33, v11
	;; [unrolled: 1-line block ×5, first 2 shown]
	v_fmac_f32_e32 v45, v0, v41
	v_fma_f32 v41, v0, v42, -v1
	v_fmac_f32_e32 v46, v2, v23
	v_fma_f32 v1, v2, v24, -v3
	;; [unrolled: 2-line block ×3, first 2 shown]
	v_fma_f32 v4, v8, v32, -v9
	v_fmac_f32_e32 v52, v37, v14
	v_add_f32_e32 v9, v48, v50
	v_fma_f32 v3, v6, v28, -v7
	v_fma_f32 v5, v34, v10, -v11
	v_fmac_f32_e32 v51, v35, v12
	v_fma_f32 v6, v36, v12, -v13
	v_fma_f32 v7, v38, v14, -v15
	v_sub_f32_e32 v12, v46, v48
	v_sub_f32_e32 v13, v52, v50
	v_add_f32_e32 v14, v46, v52
	v_sub_f32_e32 v15, v48, v46
	v_sub_f32_e32 v23, v50, v52
	v_fma_f32 v27, -0.5, v9, v21
	v_fmac_f32_e32 v49, v8, v31
	v_add_f32_e32 v8, v21, v46
	v_sub_f32_e32 v10, v1, v7
	v_add_f32_e32 v24, v22, v1
	v_add_f32_e32 v25, v3, v5
	;; [unrolled: 1-line block ×3, first 2 shown]
	v_fma_f32 v13, -0.5, v14, v21
	v_add_f32_e32 v12, v15, v23
	v_mov_b32_e32 v15, v27
	v_sub_f32_e32 v11, v3, v5
	v_add_f32_e32 v8, v8, v48
	v_add_f32_e32 v14, v24, v3
	v_fma_f32 v24, -0.5, v25, v22
	v_fmac_f32_e32 v27, 0x3f737871, v10
	v_mov_b32_e32 v21, v13
	v_fmac_f32_e32 v15, 0xbf737871, v10
	v_sub_f32_e32 v26, v46, v52
	v_add_f32_e32 v8, v8, v50
	v_fmac_f32_e32 v13, 0xbf737871, v11
	v_mov_b32_e32 v25, v24
	v_fmac_f32_e32 v27, 0x3f167918, v11
	v_fmac_f32_e32 v21, 0x3f737871, v11
	;; [unrolled: 1-line block ×3, first 2 shown]
	v_add_f32_e32 v23, v8, v52
	v_fmac_f32_e32 v13, 0x3f167918, v10
	v_fmac_f32_e32 v27, 0x3e9e377a, v9
	;; [unrolled: 1-line block ×5, first 2 shown]
	v_sub_f32_e32 v8, v48, v50
	v_sub_f32_e32 v9, v1, v3
	;; [unrolled: 1-line block ×3, first 2 shown]
	v_fmac_f32_e32 v24, 0xbf737871, v26
	v_fmac_f32_e32 v25, 0x3f167918, v8
	v_add_f32_e32 v9, v9, v10
	v_fmac_f32_e32 v24, 0xbf167918, v8
	v_fmac_f32_e32 v25, 0x3e9e377a, v9
	;; [unrolled: 1-line block ×3, first 2 shown]
	v_add_f32_e32 v9, v1, v7
	v_fma_f32 v22, -0.5, v9, v22
	v_mov_b32_e32 v31, v22
	v_fmac_f32_e32 v31, 0xbf737871, v8
	v_sub_f32_e32 v1, v3, v1
	v_sub_f32_e32 v3, v5, v7
	v_fmac_f32_e32 v22, 0x3f737871, v8
	v_fmac_f32_e32 v31, 0x3f167918, v26
	v_add_f32_e32 v1, v1, v3
	v_fmac_f32_e32 v22, 0xbf167918, v26
	v_fmac_f32_e32 v31, 0x3e9e377a, v1
	;; [unrolled: 1-line block ×3, first 2 shown]
	v_add_f32_e32 v1, v45, v47
	s_waitcnt vmcnt(0)
	v_mul_f32_e32 v53, v44, v40
	v_add_f32_e32 v1, v1, v49
	v_fmac_f32_e32 v53, v43, v39
	v_add_f32_e32 v1, v1, v51
	v_mul_f32_e32 v0, v43, v40
	v_add_f32_e32 v10, v1, v53
	v_add_f32_e32 v1, v49, v51
	v_fma_f32 v0, v44, v39, -v0
	v_fma_f32 v9, -0.5, v1, v45
	v_add_f32_e32 v14, v14, v5
	v_sub_f32_e32 v1, v2, v0
	v_mov_b32_e32 v3, v9
	v_add_f32_e32 v28, v14, v7
	v_fmac_f32_e32 v3, 0xbf737871, v1
	v_sub_f32_e32 v5, v4, v6
	v_sub_f32_e32 v7, v47, v49
	;; [unrolled: 1-line block ×3, first 2 shown]
	v_fmac_f32_e32 v9, 0x3f737871, v1
	v_fmac_f32_e32 v3, 0xbf167918, v5
	v_add_f32_e32 v7, v7, v8
	v_fmac_f32_e32 v9, 0x3f167918, v5
	v_fmac_f32_e32 v3, 0x3e9e377a, v7
	;; [unrolled: 1-line block ×3, first 2 shown]
	v_add_f32_e32 v7, v47, v53
	v_fmac_f32_e32 v45, -0.5, v7
	v_mov_b32_e32 v7, v45
	v_fmac_f32_e32 v7, 0x3f737871, v5
	v_fmac_f32_e32 v45, 0xbf737871, v5
	;; [unrolled: 1-line block ×4, first 2 shown]
	v_add_f32_e32 v1, v41, v2
	v_add_f32_e32 v1, v1, v4
	v_sub_f32_e32 v8, v49, v47
	v_sub_f32_e32 v11, v51, v53
	v_add_f32_e32 v1, v1, v6
	v_add_f32_e32 v8, v8, v11
	;; [unrolled: 1-line block ×4, first 2 shown]
	v_fmac_f32_e32 v13, 0x3e9e377a, v12
	v_fmac_f32_e32 v21, 0x3e9e377a, v12
	v_fma_f32 v12, -0.5, v1, v41
	v_sub_f32_e32 v1, v47, v53
	v_mov_b32_e32 v5, v12
	v_fmac_f32_e32 v7, 0x3e9e377a, v8
	v_fmac_f32_e32 v45, 0x3e9e377a, v8
	;; [unrolled: 1-line block ×3, first 2 shown]
	v_sub_f32_e32 v8, v49, v51
	v_sub_f32_e32 v14, v2, v4
	;; [unrolled: 1-line block ×3, first 2 shown]
	v_fmac_f32_e32 v12, 0xbf737871, v1
	v_fmac_f32_e32 v5, 0x3f167918, v8
	v_add_f32_e32 v14, v14, v26
	v_fmac_f32_e32 v12, 0xbf167918, v8
	v_fmac_f32_e32 v5, 0x3e9e377a, v14
	;; [unrolled: 1-line block ×3, first 2 shown]
	v_add_f32_e32 v14, v2, v0
	v_fmac_f32_e32 v41, -0.5, v14
	v_mov_b32_e32 v14, v41
	v_fmac_f32_e32 v14, 0xbf737871, v8
	v_sub_f32_e32 v2, v4, v2
	v_sub_f32_e32 v0, v6, v0
	v_fmac_f32_e32 v41, 0x3f737871, v8
	v_fmac_f32_e32 v14, 0x3f167918, v1
	v_add_f32_e32 v0, v2, v0
	v_fmac_f32_e32 v41, 0xbf167918, v1
	v_fmac_f32_e32 v14, 0x3e9e377a, v0
	;; [unrolled: 1-line block ×3, first 2 shown]
	v_mul_f32_e32 v26, 0xbf167918, v5
	v_mul_f32_e32 v35, 0x3f4f1bbd, v5
	v_fmac_f32_e32 v26, 0x3f4f1bbd, v3
	v_mul_f32_e32 v32, 0xbf737871, v14
	v_mul_f32_e32 v33, 0xbf737871, v41
	;; [unrolled: 1-line block ×3, first 2 shown]
	v_fmac_f32_e32 v35, 0x3f167918, v3
	v_mul_f32_e32 v36, 0x3e9e377a, v14
	v_mul_f32_e32 v37, 0xbe9e377a, v41
	;; [unrolled: 1-line block ×3, first 2 shown]
	v_add_f32_e32 v0, v23, v10
	v_add_f32_e32 v2, v15, v26
	v_fmac_f32_e32 v32, 0x3e9e377a, v7
	v_fmac_f32_e32 v33, 0xbe9e377a, v45
	;; [unrolled: 1-line block ×3, first 2 shown]
	v_add_f32_e32 v1, v28, v11
	v_add_f32_e32 v3, v25, v35
	v_fmac_f32_e32 v36, 0x3f737871, v7
	v_fmac_f32_e32 v37, 0x3f737871, v45
	;; [unrolled: 1-line block ×3, first 2 shown]
	v_add_f32_e32 v4, v21, v32
	v_add_f32_e32 v6, v13, v33
	;; [unrolled: 1-line block ×6, first 2 shown]
	v_sub_f32_e32 v10, v23, v10
	v_sub_f32_e32 v11, v28, v11
	ds_write2_b64 v29, v[0:1], v[2:3] offset1:60
	ds_write2_b64 v29, v[4:5], v[6:7] offset0:120 offset1:180
	v_add_u32_e32 v0, 0x400, v29
	v_sub_f32_e32 v12, v15, v26
	v_sub_f32_e32 v14, v21, v32
	;; [unrolled: 1-line block ×8, first 2 shown]
	ds_write2_b64 v0, v[8:9], v[10:11] offset0:112 offset1:172
	ds_write2_b64 v17, v[12:13], v[14:15] offset0:104 offset1:164
	v_add_u32_e32 v0, 0xc00, v29
	ds_write2_b64 v0, v[21:22], v[23:24] offset0:96 offset1:156
	s_waitcnt lgkmcnt(0)
	; wave barrier
	s_waitcnt lgkmcnt(0)
	ds_read_b64 v[4:5], v29
	v_lshlrev_b32_e32 v0, 3, v16
	v_sub_u32_e32 v6, 0, v0
                                        ; implicit-def: $vgpr2
                                        ; implicit-def: $vgpr7
                                        ; implicit-def: $vgpr8
                                        ; implicit-def: $vgpr0_vgpr1
	s_and_saveexec_b64 s[4:5], vcc
	s_xor_b64 s[4:5], exec, s[4:5]
	s_cbranch_execz .LBB0_19
; %bb.18:
	v_mov_b32_e32 v17, 0
	v_lshlrev_b64 v[0:1], 3, v[16:17]
	v_mov_b32_e32 v2, s7
	v_add_co_u32_e32 v0, vcc, s6, v0
	v_addc_co_u32_e32 v1, vcc, v2, v1, vcc
	global_load_dwordx2 v[0:1], v[0:1], off
	ds_read_b64 v[2:3], v6 offset:4800
	s_waitcnt lgkmcnt(0)
	v_add_f32_e32 v9, v2, v4
	v_sub_f32_e32 v2, v4, v2
	v_add_f32_e32 v7, v3, v5
	v_sub_f32_e32 v3, v5, v3
	v_mul_f32_e32 v2, 0.5, v2
	v_mul_f32_e32 v4, 0.5, v7
	;; [unrolled: 1-line block ×3, first 2 shown]
	s_waitcnt vmcnt(0)
	v_mul_f32_e32 v5, v1, v2
	v_fma_f32 v8, v4, v1, v3
	v_fma_f32 v1, v4, v1, -v3
	v_fma_f32 v7, 0.5, v9, v5
	v_fma_f32 v5, v9, 0.5, -v5
	v_fma_f32 v8, -v0, v2, v8
	v_fma_f32 v3, -v0, v2, v1
	v_fmac_f32_e32 v7, v0, v4
	v_fma_f32 v2, -v0, v4, v5
	v_mov_b32_e32 v0, v16
	v_mov_b32_e32 v1, v17
                                        ; implicit-def: $vgpr4_vgpr5
.LBB0_19:
	s_andn2_saveexec_b64 s[4:5], s[4:5]
	s_cbranch_execz .LBB0_21
; %bb.20:
	v_mov_b32_e32 v8, 0
	ds_read_b32 v3, v8 offset:2404
	v_mov_b32_e32 v0, 0
	s_waitcnt lgkmcnt(1)
	v_add_f32_e32 v7, v4, v5
	v_sub_f32_e32 v2, v4, v5
	v_mov_b32_e32 v1, 0
	s_waitcnt lgkmcnt(0)
	v_xor_b32_e32 v3, 0x80000000, v3
	ds_write_b32 v8, v3 offset:2404
	v_mov_b32_e32 v3, 0
.LBB0_21:
	s_or_b64 exec, exec, s[4:5]
	v_mov_b32_e32 v21, 0
	s_waitcnt lgkmcnt(0)
	v_lshlrev_b64 v[4:5], 3, v[20:21]
	v_mov_b32_e32 v9, s7
	v_add_co_u32_e32 v4, vcc, s6, v4
	v_addc_co_u32_e32 v5, vcc, v9, v5, vcc
	global_load_dwordx2 v[4:5], v[4:5], off
	v_lshlrev_b64 v[0:1], 3, v[0:1]
	v_mov_b32_e32 v10, s7
	v_add_co_u32_e32 v9, vcc, s6, v0
	v_addc_co_u32_e32 v10, vcc, v10, v1, vcc
	global_load_dwordx2 v[11:12], v[9:10], off offset:960
	global_load_dwordx2 v[13:14], v[9:10], off offset:1440
	ds_write2_b32 v29, v7, v8 offset1:1
	ds_write_b64 v6, v[2:3] offset:4800
	ds_read_b64 v[2:3], v30
	ds_read_b64 v[7:8], v6 offset:4320
	global_load_dwordx2 v[9:10], v[9:10], off offset:1920
	s_waitcnt lgkmcnt(0)
	v_add_f32_e32 v15, v2, v7
	v_sub_f32_e32 v2, v2, v7
	v_add_f32_e32 v17, v3, v8
	v_sub_f32_e32 v3, v3, v8
	v_mul_f32_e32 v2, 0.5, v2
	v_mul_f32_e32 v7, 0.5, v17
	v_mul_f32_e32 v3, 0.5, v3
	s_waitcnt vmcnt(3)
	v_mul_f32_e32 v8, v5, v2
	v_fma_f32 v17, v7, v5, v3
	v_fma_f32 v3, v7, v5, -v3
	v_fma_f32 v5, 0.5, v15, v8
	v_fma_f32 v17, -v4, v2, v17
	v_fma_f32 v8, v15, 0.5, -v8
	v_fmac_f32_e32 v5, v4, v7
	v_fma_f32 v3, -v4, v2, v3
	v_fma_f32 v2, -v4, v7, v8
	ds_write2_b32 v30, v5, v17 offset1:1
	ds_write_b64 v6, v[2:3] offset:4320
	ds_read_b64 v[2:3], v29 offset:960
	ds_read_b64 v[4:5], v6 offset:3840
	s_waitcnt lgkmcnt(0)
	v_add_f32_e32 v7, v2, v4
	v_sub_f32_e32 v2, v2, v4
	v_add_f32_e32 v8, v3, v5
	v_sub_f32_e32 v3, v3, v5
	v_mul_f32_e32 v2, 0.5, v2
	v_mul_f32_e32 v4, 0.5, v8
	v_mul_f32_e32 v3, 0.5, v3
	s_waitcnt vmcnt(2)
	v_mul_f32_e32 v5, v12, v2
	v_fma_f32 v8, v4, v12, v3
	v_fma_f32 v3, v4, v12, -v3
	v_fma_f32 v12, 0.5, v7, v5
	v_fma_f32 v8, -v11, v2, v8
	v_fma_f32 v5, v7, 0.5, -v5
	v_fmac_f32_e32 v12, v11, v4
	v_fma_f32 v3, -v11, v2, v3
	v_fma_f32 v2, -v11, v4, v5
	ds_write2_b32 v29, v12, v8 offset0:240 offset1:241
	ds_write_b64 v6, v[2:3] offset:3840
	ds_read_b64 v[3:4], v29 offset:1440
	ds_read_b64 v[7:8], v6 offset:3360
	v_add_u32_e32 v2, 0x400, v29
	s_waitcnt lgkmcnt(0)
	v_add_f32_e32 v5, v3, v7
	v_sub_f32_e32 v3, v3, v7
	v_add_f32_e32 v11, v4, v8
	v_sub_f32_e32 v4, v4, v8
	v_mul_f32_e32 v3, 0.5, v3
	v_mul_f32_e32 v7, 0.5, v11
	;; [unrolled: 1-line block ×3, first 2 shown]
	s_waitcnt vmcnt(1)
	v_mul_f32_e32 v8, v14, v3
	v_fma_f32 v11, v7, v14, v4
	v_fma_f32 v12, 0.5, v5, v8
	v_fma_f32 v4, v7, v14, -v4
	v_fma_f32 v11, -v13, v3, v11
	v_fma_f32 v5, v5, 0.5, -v8
	v_fmac_f32_e32 v12, v13, v7
	v_fma_f32 v4, -v13, v3, v4
	v_fma_f32 v3, -v13, v7, v5
	ds_write2_b32 v2, v12, v11 offset0:104 offset1:105
	ds_write_b64 v6, v[3:4] offset:3360
	ds_read_b64 v[3:4], v29 offset:1920
	ds_read_b64 v[7:8], v6 offset:2880
	s_waitcnt lgkmcnt(0)
	v_add_f32_e32 v5, v3, v7
	v_sub_f32_e32 v3, v3, v7
	v_add_f32_e32 v11, v4, v8
	v_sub_f32_e32 v4, v4, v8
	v_mul_f32_e32 v3, 0.5, v3
	v_mul_f32_e32 v7, 0.5, v11
	;; [unrolled: 1-line block ×3, first 2 shown]
	s_waitcnt vmcnt(0)
	v_mul_f32_e32 v8, v10, v3
	v_fma_f32 v11, v7, v10, v4
	v_fma_f32 v4, v7, v10, -v4
	v_fma_f32 v10, 0.5, v5, v8
	v_fma_f32 v11, -v9, v3, v11
	v_fma_f32 v5, v5, 0.5, -v8
	v_fmac_f32_e32 v10, v9, v7
	v_fma_f32 v4, -v9, v3, v4
	v_fma_f32 v3, -v9, v7, v5
	ds_write2_b32 v2, v10, v11 offset0:224 offset1:225
	ds_write_b64 v6, v[3:4] offset:2880
	s_waitcnt lgkmcnt(0)
	; wave barrier
	s_waitcnt lgkmcnt(0)
	s_and_saveexec_b64 s[4:5], s[0:1]
	s_cbranch_execz .LBB0_24
; %bb.22:
	ds_read2_b64 v[5:8], v29 offset1:60
	v_mov_b32_e32 v3, s3
	v_add_co_u32_e32 v4, vcc, s2, v18
	v_addc_co_u32_e32 v3, vcc, v3, v19, vcc
	ds_read2_b64 v[9:12], v29 offset0:120 offset1:180
	v_add_co_u32_e32 v0, vcc, v4, v0
	v_addc_co_u32_e32 v1, vcc, v3, v1, vcc
	s_waitcnt lgkmcnt(1)
	global_store_dwordx2 v[0:1], v[5:6], off
	global_store_dwordx2 v[0:1], v[7:8], off offset:480
	s_waitcnt lgkmcnt(0)
	global_store_dwordx2 v[0:1], v[9:10], off offset:960
	global_store_dwordx2 v[0:1], v[11:12], off offset:1440
	ds_read2_b64 v[5:8], v2 offset0:112 offset1:172
	v_add_u32_e32 v2, 0x800, v29
	ds_read2_b64 v[9:12], v2 offset0:104 offset1:164
	v_add_u32_e32 v2, 0xc00, v29
	ds_read2_b64 v[17:20], v2 offset0:96 offset1:156
	s_waitcnt lgkmcnt(2)
	global_store_dwordx2 v[0:1], v[5:6], off offset:1920
	global_store_dwordx2 v[0:1], v[7:8], off offset:2400
	s_waitcnt lgkmcnt(1)
	global_store_dwordx2 v[0:1], v[9:10], off offset:2880
	global_store_dwordx2 v[0:1], v[11:12], off offset:3360
	s_waitcnt lgkmcnt(0)
	global_store_dwordx2 v[0:1], v[17:18], off offset:3840
	v_add_co_u32_e32 v0, vcc, 0x1000, v0
	v_addc_co_u32_e32 v1, vcc, 0, v1, vcc
	v_cmp_eq_u32_e32 vcc, 59, v16
	global_store_dwordx2 v[0:1], v[19:20], off offset:224
	s_and_b64 exec, exec, vcc
	s_cbranch_execz .LBB0_24
; %bb.23:
	v_mov_b32_e32 v0, 0
	ds_read_b64 v[0:1], v0 offset:4800
	v_add_co_u32_e32 v2, vcc, 0x1000, v4
	v_addc_co_u32_e32 v3, vcc, 0, v3, vcc
	s_waitcnt lgkmcnt(0)
	global_store_dwordx2 v[2:3], v[0:1], off offset:704
.LBB0_24:
	s_endpgm
	.section	.rodata,"a",@progbits
	.p2align	6, 0x0
	.amdhsa_kernel fft_rtc_back_len600_factors_10_6_10_wgs_60_tpt_60_halfLds_sp_ip_CI_unitstride_sbrr_R2C_dirReg
		.amdhsa_group_segment_fixed_size 0
		.amdhsa_private_segment_fixed_size 0
		.amdhsa_kernarg_size 88
		.amdhsa_user_sgpr_count 6
		.amdhsa_user_sgpr_private_segment_buffer 1
		.amdhsa_user_sgpr_dispatch_ptr 0
		.amdhsa_user_sgpr_queue_ptr 0
		.amdhsa_user_sgpr_kernarg_segment_ptr 1
		.amdhsa_user_sgpr_dispatch_id 0
		.amdhsa_user_sgpr_flat_scratch_init 0
		.amdhsa_user_sgpr_private_segment_size 0
		.amdhsa_uses_dynamic_stack 0
		.amdhsa_system_sgpr_private_segment_wavefront_offset 0
		.amdhsa_system_sgpr_workgroup_id_x 1
		.amdhsa_system_sgpr_workgroup_id_y 0
		.amdhsa_system_sgpr_workgroup_id_z 0
		.amdhsa_system_sgpr_workgroup_info 0
		.amdhsa_system_vgpr_workitem_id 0
		.amdhsa_next_free_vgpr 54
		.amdhsa_next_free_sgpr 22
		.amdhsa_reserve_vcc 1
		.amdhsa_reserve_flat_scratch 0
		.amdhsa_float_round_mode_32 0
		.amdhsa_float_round_mode_16_64 0
		.amdhsa_float_denorm_mode_32 3
		.amdhsa_float_denorm_mode_16_64 3
		.amdhsa_dx10_clamp 1
		.amdhsa_ieee_mode 1
		.amdhsa_fp16_overflow 0
		.amdhsa_exception_fp_ieee_invalid_op 0
		.amdhsa_exception_fp_denorm_src 0
		.amdhsa_exception_fp_ieee_div_zero 0
		.amdhsa_exception_fp_ieee_overflow 0
		.amdhsa_exception_fp_ieee_underflow 0
		.amdhsa_exception_fp_ieee_inexact 0
		.amdhsa_exception_int_div_zero 0
	.end_amdhsa_kernel
	.text
.Lfunc_end0:
	.size	fft_rtc_back_len600_factors_10_6_10_wgs_60_tpt_60_halfLds_sp_ip_CI_unitstride_sbrr_R2C_dirReg, .Lfunc_end0-fft_rtc_back_len600_factors_10_6_10_wgs_60_tpt_60_halfLds_sp_ip_CI_unitstride_sbrr_R2C_dirReg
                                        ; -- End function
	.section	.AMDGPU.csdata,"",@progbits
; Kernel info:
; codeLenInByte = 5940
; NumSgprs: 26
; NumVgprs: 54
; ScratchSize: 0
; MemoryBound: 0
; FloatMode: 240
; IeeeMode: 1
; LDSByteSize: 0 bytes/workgroup (compile time only)
; SGPRBlocks: 3
; VGPRBlocks: 13
; NumSGPRsForWavesPerEU: 26
; NumVGPRsForWavesPerEU: 54
; Occupancy: 4
; WaveLimiterHint : 1
; COMPUTE_PGM_RSRC2:SCRATCH_EN: 0
; COMPUTE_PGM_RSRC2:USER_SGPR: 6
; COMPUTE_PGM_RSRC2:TRAP_HANDLER: 0
; COMPUTE_PGM_RSRC2:TGID_X_EN: 1
; COMPUTE_PGM_RSRC2:TGID_Y_EN: 0
; COMPUTE_PGM_RSRC2:TGID_Z_EN: 0
; COMPUTE_PGM_RSRC2:TIDIG_COMP_CNT: 0
	.type	__hip_cuid_6a9cc500e7a2fbf,@object ; @__hip_cuid_6a9cc500e7a2fbf
	.section	.bss,"aw",@nobits
	.globl	__hip_cuid_6a9cc500e7a2fbf
__hip_cuid_6a9cc500e7a2fbf:
	.byte	0                               ; 0x0
	.size	__hip_cuid_6a9cc500e7a2fbf, 1

	.ident	"AMD clang version 19.0.0git (https://github.com/RadeonOpenCompute/llvm-project roc-6.4.0 25133 c7fe45cf4b819c5991fe208aaa96edf142730f1d)"
	.section	".note.GNU-stack","",@progbits
	.addrsig
	.addrsig_sym __hip_cuid_6a9cc500e7a2fbf
	.amdgpu_metadata
---
amdhsa.kernels:
  - .args:
      - .actual_access:  read_only
        .address_space:  global
        .offset:         0
        .size:           8
        .value_kind:     global_buffer
      - .offset:         8
        .size:           8
        .value_kind:     by_value
      - .actual_access:  read_only
        .address_space:  global
        .offset:         16
        .size:           8
        .value_kind:     global_buffer
      - .actual_access:  read_only
        .address_space:  global
        .offset:         24
        .size:           8
        .value_kind:     global_buffer
      - .offset:         32
        .size:           8
        .value_kind:     by_value
      - .actual_access:  read_only
        .address_space:  global
        .offset:         40
        .size:           8
        .value_kind:     global_buffer
      - .actual_access:  read_only
        .address_space:  global
        .offset:         48
        .size:           8
        .value_kind:     global_buffer
      - .offset:         56
        .size:           4
        .value_kind:     by_value
      - .actual_access:  read_only
        .address_space:  global
        .offset:         64
        .size:           8
        .value_kind:     global_buffer
      - .actual_access:  read_only
        .address_space:  global
        .offset:         72
        .size:           8
        .value_kind:     global_buffer
      - .address_space:  global
        .offset:         80
        .size:           8
        .value_kind:     global_buffer
    .group_segment_fixed_size: 0
    .kernarg_segment_align: 8
    .kernarg_segment_size: 88
    .language:       OpenCL C
    .language_version:
      - 2
      - 0
    .max_flat_workgroup_size: 60
    .name:           fft_rtc_back_len600_factors_10_6_10_wgs_60_tpt_60_halfLds_sp_ip_CI_unitstride_sbrr_R2C_dirReg
    .private_segment_fixed_size: 0
    .sgpr_count:     26
    .sgpr_spill_count: 0
    .symbol:         fft_rtc_back_len600_factors_10_6_10_wgs_60_tpt_60_halfLds_sp_ip_CI_unitstride_sbrr_R2C_dirReg.kd
    .uniform_work_group_size: 1
    .uses_dynamic_stack: false
    .vgpr_count:     54
    .vgpr_spill_count: 0
    .wavefront_size: 64
amdhsa.target:   amdgcn-amd-amdhsa--gfx906
amdhsa.version:
  - 1
  - 2
...

	.end_amdgpu_metadata
